;; amdgpu-corpus repo=ROCm/rocFFT kind=compiled arch=gfx1030 opt=O3
	.text
	.amdgcn_target "amdgcn-amd-amdhsa--gfx1030"
	.amdhsa_code_object_version 6
	.protected	bluestein_single_back_len4096_dim1_sp_op_CI_CI ; -- Begin function bluestein_single_back_len4096_dim1_sp_op_CI_CI
	.globl	bluestein_single_back_len4096_dim1_sp_op_CI_CI
	.p2align	8
	.type	bluestein_single_back_len4096_dim1_sp_op_CI_CI,@function
bluestein_single_back_len4096_dim1_sp_op_CI_CI: ; @bluestein_single_back_len4096_dim1_sp_op_CI_CI
; %bb.0:
	s_load_dwordx4 s[12:15], s[4:5], 0x28
	s_mov_b32 s7, 0
	s_mov_b32 s1, exec_lo
	s_waitcnt lgkmcnt(0)
	v_cmpx_lt_u64_e64 s[6:7], s[12:13]
	s_cbranch_execz .LBB0_2
; %bb.1:
	s_clause 0x1
	s_load_dwordx4 s[0:3], s[4:5], 0x18
	s_load_dwordx4 s[8:11], s[4:5], 0x0
	v_mov_b32_e32 v90, s7
	v_mov_b32_e32 v89, s6
	v_lshlrev_b32_e32 v134, 3, v0
	v_lshlrev_b32_e32 v135, 7, v0
	s_load_dwordx2 s[4:5], s[4:5], 0x38
	v_or_b32_e32 v100, 0x1800, v134
	v_or_b32_e32 v104, 0x2800, v134
	;; [unrolled: 1-line block ×11, first 2 shown]
	s_waitcnt lgkmcnt(0)
	s_load_dwordx4 s[16:19], s[0:1], 0x0
	s_add_u32 s6, s8, 0x8000
	s_addc_u32 s7, s9, 0
	v_or_b32_e32 v113, 0x5000, v134
	v_or_b32_e32 v120, 0x6800, v134
	s_clause 0xd
	global_load_dwordx2 v[79:80], v134, s[8:9]
	global_load_dwordx2 v[81:82], v96, s[8:9]
	;; [unrolled: 1-line block ×14, first 2 shown]
	v_or_b32_e32 v122, 0x7000, v134
	v_or_b32_e32 v124, 0x7800, v134
	v_mad_u64_u32 v[108:109], null, 0x78, v0, s[10:11]
	s_waitcnt lgkmcnt(0)
	v_mad_u64_u32 v[1:2], null, s18, v89, 0
	v_mad_u64_u32 v[3:4], null, s16, v0, 0
	s_lshl_b64 s[0:1], s[16:17], 11
	v_mad_u64_u32 v[5:6], null, s19, v89, v[2:3]
	v_mad_u64_u32 v[6:7], null, s17, v0, v[4:5]
	v_mov_b32_e32 v2, v5
	v_lshlrev_b64 v[1:2], 3, v[1:2]
	v_mov_b32_e32 v4, v6
	v_add_co_u32 v1, vcc_lo, s14, v1
	v_lshlrev_b64 v[3:4], 3, v[3:4]
	v_add_co_ci_u32_e32 v2, vcc_lo, s15, v2, vcc_lo
	v_add_co_u32 v1, vcc_lo, v1, v3
	v_add_co_ci_u32_e32 v2, vcc_lo, v2, v4, vcc_lo
	v_add_co_u32 v3, vcc_lo, v1, s0
	v_add_co_ci_u32_e32 v4, vcc_lo, s1, v2, vcc_lo
	global_load_dwordx2 v[1:2], v[1:2], off
	v_add_co_u32 v5, vcc_lo, v3, s0
	v_add_co_ci_u32_e32 v6, vcc_lo, s1, v4, vcc_lo
	global_load_dwordx2 v[3:4], v[3:4], off
	v_add_co_u32 v7, vcc_lo, v5, s0
	v_add_co_ci_u32_e32 v8, vcc_lo, s1, v6, vcc_lo
	global_load_dwordx2 v[5:6], v[5:6], off
	v_add_co_u32 v9, vcc_lo, v7, s0
	v_add_co_ci_u32_e32 v10, vcc_lo, s1, v8, vcc_lo
	global_load_dwordx2 v[7:8], v[7:8], off
	v_add_co_u32 v11, vcc_lo, v9, s0
	v_add_co_ci_u32_e32 v12, vcc_lo, s1, v10, vcc_lo
	global_load_dwordx2 v[9:10], v[9:10], off
	v_add_co_u32 v13, vcc_lo, v11, s0
	v_add_co_ci_u32_e32 v14, vcc_lo, s1, v12, vcc_lo
	global_load_dwordx2 v[11:12], v[11:12], off
	v_add_co_u32 v15, vcc_lo, v13, s0
	v_add_co_ci_u32_e32 v16, vcc_lo, s1, v14, vcc_lo
	global_load_dwordx2 v[13:14], v[13:14], off
	v_add_co_u32 v17, vcc_lo, v15, s0
	v_add_co_ci_u32_e32 v18, vcc_lo, s1, v16, vcc_lo
	global_load_dwordx2 v[15:16], v[15:16], off
	v_add_co_u32 v19, vcc_lo, v17, s0
	v_add_co_ci_u32_e32 v20, vcc_lo, s1, v18, vcc_lo
	global_load_dwordx2 v[17:18], v[17:18], off
	v_add_co_u32 v21, vcc_lo, v19, s0
	v_add_co_ci_u32_e32 v22, vcc_lo, s1, v20, vcc_lo
	global_load_dwordx2 v[19:20], v[19:20], off
	v_add_co_u32 v23, vcc_lo, v21, s0
	v_add_co_ci_u32_e32 v24, vcc_lo, s1, v22, vcc_lo
	global_load_dwordx2 v[21:22], v[21:22], off
	v_add_co_u32 v25, vcc_lo, v23, s0
	v_add_co_ci_u32_e32 v26, vcc_lo, s1, v24, vcc_lo
	global_load_dwordx2 v[23:24], v[23:24], off
	v_add_co_u32 v27, vcc_lo, v25, s0
	v_add_co_ci_u32_e32 v28, vcc_lo, s1, v26, vcc_lo
	global_load_dwordx2 v[25:26], v[25:26], off
	v_add_co_u32 v29, vcc_lo, v27, s0
	v_add_co_ci_u32_e32 v30, vcc_lo, s1, v28, vcc_lo
	global_load_dwordx2 v[27:28], v[27:28], off
	v_add_co_u32 v31, vcc_lo, v29, s0
	v_add_co_ci_u32_e32 v32, vcc_lo, s1, v30, vcc_lo
	global_load_dwordx2 v[85:86], v122, s[8:9]
	global_load_dwordx2 v[29:30], v[29:30], off
	global_load_dwordx2 v[87:88], v124, s[8:9]
	global_load_dwordx2 v[31:32], v[31:32], off
	s_load_dwordx4 s[0:3], s[2:3], 0x0
	s_waitcnt vmcnt(17)
	v_mul_f32_e32 v33, v2, v80
	v_mul_f32_e32 v34, v1, v80
	v_fmac_f32_e32 v33, v1, v79
	s_waitcnt vmcnt(16)
	v_mul_f32_e32 v1, v4, v82
	v_fma_f32 v34, v2, v79, -v34
	v_mul_f32_e32 v2, v3, v82
	s_waitcnt vmcnt(15)
	v_mul_f32_e32 v35, v6, v74
	v_mul_f32_e32 v36, v5, v74
	v_fmac_f32_e32 v1, v3, v81
	v_fma_f32 v2, v4, v81, -v2
	s_waitcnt vmcnt(14)
	v_mul_f32_e32 v3, v8, v84
	v_fmac_f32_e32 v35, v5, v73
	v_fma_f32 v36, v6, v73, -v36
	v_mul_f32_e32 v4, v7, v84
	v_fmac_f32_e32 v3, v7, v83
	s_waitcnt vmcnt(13)
	v_mul_f32_e32 v5, v10, v76
	v_mul_f32_e32 v6, v9, v76
	v_fma_f32 v4, v8, v83, -v4
	ds_write2st64_b64 v134, v[33:34], v[1:2] offset1:4
	ds_write2st64_b64 v134, v[35:36], v[3:4] offset0:8 offset1:12
	s_waitcnt vmcnt(12)
	v_mul_f32_e32 v7, v12, v78
	v_mul_f32_e32 v37, v11, v78
	v_fmac_f32_e32 v5, v9, v75
	v_fma_f32 v6, v10, v75, -v6
	s_waitcnt vmcnt(11)
	v_mul_f32_e32 v1, v14, v72
	v_fmac_f32_e32 v7, v11, v77
	v_fma_f32 v8, v12, v77, -v37
	v_mul_f32_e32 v2, v13, v72
	s_waitcnt vmcnt(10)
	v_mul_f32_e32 v3, v16, v68
	v_mul_f32_e32 v4, v15, v68
	v_fmac_f32_e32 v1, v13, v71
	ds_write2st64_b64 v134, v[5:6], v[7:8] offset0:16 offset1:20
	s_waitcnt vmcnt(9)
	v_mul_f32_e32 v5, v18, v70
	v_mul_f32_e32 v6, v17, v70
	v_fma_f32 v2, v14, v71, -v2
	v_fmac_f32_e32 v3, v15, v67
	v_fma_f32 v4, v16, v67, -v4
	s_waitcnt vmcnt(8)
	v_mul_f32_e32 v7, v20, v64
	v_mul_f32_e32 v8, v19, v64
	v_fmac_f32_e32 v5, v17, v69
	v_fma_f32 v6, v18, v69, -v6
	v_and_b32_e32 v33, 15, v0
	s_waitcnt vmcnt(7)
	v_mul_f32_e32 v9, v22, v60
	v_mul_f32_e32 v10, v21, v60
	v_fmac_f32_e32 v7, v19, v63
	v_fma_f32 v8, v20, v63, -v8
	v_mad_u64_u32 v[33:34], null, 0x78, v33, s[10:11]
	s_waitcnt vmcnt(6)
	v_mul_f32_e32 v11, v24, v66
	v_mul_f32_e32 v12, v23, v66
	v_fmac_f32_e32 v9, v21, v59
	v_fma_f32 v10, v22, v59, -v10
	s_waitcnt vmcnt(5)
	v_mul_f32_e32 v13, v26, v62
	v_mul_f32_e32 v14, v25, v62
	v_fmac_f32_e32 v11, v23, v65
	v_fma_f32 v12, v24, v65, -v12
	s_waitcnt vmcnt(4)
	v_mul_f32_e32 v15, v28, v58
	v_mul_f32_e32 v16, v27, v58
	v_fmac_f32_e32 v13, v25, v61
	s_waitcnt vmcnt(2)
	v_mul_f32_e32 v17, v30, v86
	v_mul_f32_e32 v18, v29, v86
	s_waitcnt vmcnt(0)
	v_mul_f32_e32 v19, v32, v88
	v_mul_f32_e32 v20, v31, v88
	v_fma_f32 v14, v26, v61, -v14
	v_fmac_f32_e32 v15, v27, v57
	v_fma_f32 v16, v28, v57, -v16
	v_fmac_f32_e32 v17, v29, v85
	;; [unrolled: 2-line block ×3, first 2 shown]
	v_fma_f32 v20, v32, v87, -v20
	ds_write2st64_b64 v134, v[1:2], v[3:4] offset0:24 offset1:28
	ds_write2st64_b64 v134, v[5:6], v[7:8] offset0:32 offset1:36
	;; [unrolled: 1-line block ×5, first 2 shown]
	s_waitcnt lgkmcnt(0)
	s_barrier
	buffer_gl0_inv
	ds_read2st64_b64 v[1:4], v134 offset1:4
	ds_read2st64_b64 v[5:8], v134 offset0:32 offset1:36
	ds_read2st64_b64 v[9:12], v134 offset0:16 offset1:20
	;; [unrolled: 1-line block ×7, first 2 shown]
	s_waitcnt lgkmcnt(0)
	s_barrier
	buffer_gl0_inv
	v_sub_f32_e32 v5, v1, v5
	v_sub_f32_e32 v6, v2, v6
	;; [unrolled: 1-line block ×16, first 2 shown]
	v_fma_f32 v1, v1, 2.0, -v5
	v_fma_f32 v2, v2, 2.0, -v6
	;; [unrolled: 1-line block ×16, first 2 shown]
	v_sub_f32_e32 v14, v5, v14
	v_add_f32_e32 v13, v6, v13
	v_sub_f32_e32 v30, v21, v30
	v_add_f32_e32 v29, v22, v29
	;; [unrolled: 2-line block ×4, first 2 shown]
	v_sub_f32_e32 v9, v1, v9
	v_sub_f32_e32 v10, v2, v10
	v_fma_f32 v5, v5, 2.0, -v14
	v_fma_f32 v6, v6, 2.0, -v13
	v_sub_f32_e32 v25, v17, v25
	v_sub_f32_e32 v26, v18, v26
	v_fma_f32 v21, v21, 2.0, -v30
	v_fma_f32 v22, v22, 2.0, -v29
	;; [unrolled: 4-line block ×4, first 2 shown]
	v_fmamk_f32 v35, v30, 0x3f3504f3, v14
	v_fmamk_f32 v36, v29, 0x3f3504f3, v13
	;; [unrolled: 1-line block ×4, first 2 shown]
	v_fma_f32 v39, v1, 2.0, -v9
	v_fma_f32 v40, v2, 2.0, -v10
	;; [unrolled: 1-line block ×8, first 2 shown]
	v_fmamk_f32 v19, v21, 0xbf3504f3, v5
	v_fmamk_f32 v20, v22, 0xbf3504f3, v6
	v_fmac_f32_e32 v35, 0xbf3504f3, v29
	v_fmac_f32_e32 v36, 0x3f3504f3, v30
	v_fmamk_f32 v29, v23, 0xbf3504f3, v7
	v_fmamk_f32 v30, v24, 0xbf3504f3, v8
	v_sub_f32_e32 v26, v9, v26
	v_add_f32_e32 v25, v10, v25
	v_sub_f32_e32 v28, v11, v28
	v_add_f32_e32 v27, v12, v27
	v_fmac_f32_e32 v37, 0xbf3504f3, v31
	v_fmac_f32_e32 v38, 0x3f3504f3, v32
	;; [unrolled: 1-line block ×6, first 2 shown]
	v_fma_f32 v41, v9, 2.0, -v26
	v_fma_f32 v42, v10, 2.0, -v25
	;; [unrolled: 1-line block ×8, first 2 shown]
	v_sub_f32_e32 v31, v39, v1
	v_sub_f32_e32 v32, v40, v2
	;; [unrolled: 1-line block ×4, first 2 shown]
	v_fma_f32 v45, v5, 2.0, -v19
	v_fma_f32 v46, v6, 2.0, -v20
	;; [unrolled: 1-line block ×4, first 2 shown]
	v_fmamk_f32 v1, v28, 0x3f3504f3, v26
	v_fmamk_f32 v2, v27, 0x3f3504f3, v25
	;; [unrolled: 1-line block ×10, first 2 shown]
	v_fma_f32 v39, v39, 2.0, -v31
	v_fma_f32 v40, v40, 2.0, -v32
	v_fma_f32 v13, v17, 2.0, -v10
	v_fma_f32 v14, v18, 2.0, -v9
	v_fmamk_f32 v15, v47, 0xbf6c835e, v45
	v_fmamk_f32 v16, v48, 0xbf6c835e, v46
	v_fmac_f32_e32 v1, 0xbf3504f3, v27
	v_fmac_f32_e32 v2, 0x3f3504f3, v28
	;; [unrolled: 1-line block ×8, first 2 shown]
	v_sub_f32_e32 v9, v31, v9
	v_add_f32_e32 v10, v32, v10
	v_fmac_f32_e32 v11, 0xbf6c835e, v30
	v_fmac_f32_e32 v12, 0x3f6c835e, v29
	v_sub_f32_e32 v13, v39, v13
	v_sub_f32_e32 v14, v40, v14
	v_fmac_f32_e32 v15, 0xbec3ef15, v48
	v_fmac_f32_e32 v16, 0x3ec3ef15, v47
	v_fma_f32 v21, v26, 2.0, -v1
	v_fma_f32 v22, v25, 2.0, -v2
	;; [unrolled: 1-line block ×12, first 2 shown]
	ds_write_b128 v135, v[1:4] offset:112
	v_fma_f32 v1, v39, 2.0, -v13
	v_fma_f32 v2, v40, 2.0, -v14
	v_fma_f32 v3, v45, 2.0, -v15
	v_fma_f32 v4, v46, 2.0, -v16
	ds_write_b128 v135, v[21:24] offset:48
	ds_write_b128 v135, v[5:8] offset:80
	ds_write_b128 v135, v[9:12] offset:96
	ds_write_b128 v135, v[25:28] offset:16
	ds_write_b128 v135, v[17:20] offset:32
	ds_write_b128 v135, v[13:16] offset:64
	ds_write_b128 v135, v[1:4]
	s_waitcnt lgkmcnt(0)
	s_barrier
	buffer_gl0_inv
	s_clause 0x7
	global_load_dwordx4 v[13:16], v[33:34], off
	global_load_dwordx4 v[9:12], v[33:34], off offset:16
	global_load_dwordx4 v[5:8], v[33:34], off offset:32
	;; [unrolled: 1-line block ×6, first 2 shown]
	global_load_dwordx2 v[90:91], v[33:34], off offset:112
	v_lshl_or_b32 v37, v0, 4, v0
	ds_read2st64_b64 v[29:32], v134 offset1:4
	ds_read2st64_b64 v[33:36], v134 offset0:8 offset1:12
	v_and_b32_e32 v41, 0xf0f, v37
	ds_read2st64_b64 v[37:40], v134 offset0:16 offset1:20
	v_lshlrev_b32_e32 v136, 3, v41
	ds_read2st64_b64 v[41:44], v134 offset0:24 offset1:28
	ds_read2st64_b64 v[45:48], v134 offset0:32 offset1:36
	;; [unrolled: 1-line block ×5, first 2 shown]
	s_waitcnt vmcnt(0) lgkmcnt(0)
	s_barrier
	buffer_gl0_inv
	v_mul_f32_e32 v97, v32, v14
	v_mul_f32_e32 v99, v31, v14
	;; [unrolled: 1-line block ×30, first 2 shown]
	v_fma_f32 v33, v33, v15, -v101
	v_fmac_f32_e32 v103, v34, v15
	v_fma_f32 v34, v35, v9, -v105
	v_fmac_f32_e32 v111, v36, v9
	;; [unrolled: 2-line block ×15, first 2 shown]
	v_sub_f32_e32 v39, v29, v39
	v_sub_f32_e32 v46, v30, v128
	;; [unrolled: 1-line block ×16, first 2 shown]
	v_fma_f32 v29, v29, 2.0, -v39
	v_fma_f32 v30, v30, 2.0, -v46
	v_fma_f32 v35, v35, 2.0, -v43
	v_fma_f32 v54, v116, 2.0, -v47
	v_fma_f32 v33, v33, 2.0, -v41
	v_fma_f32 v55, v103, 2.0, -v48
	v_fma_f32 v37, v37, 2.0, -v32
	v_fma_f32 v56, v123, 2.0, -v49
	v_fma_f32 v31, v31, 2.0, -v40
	v_fma_f32 v92, v99, 2.0, -v50
	v_fma_f32 v36, v36, 2.0, -v44
	v_fma_f32 v93, v119, 2.0, -v51
	v_fma_f32 v34, v34, 2.0, -v42
	v_fma_f32 v94, v111, 2.0, -v52
	v_fma_f32 v38, v38, 2.0, -v45
	v_fma_f32 v95, v126, 2.0, -v53
	v_sub_f32_e32 v47, v39, v47
	v_add_f32_e32 v43, v46, v43
	v_sub_f32_e32 v49, v41, v49
	v_add_f32_e32 v32, v48, v32
	;; [unrolled: 2-line block ×4, first 2 shown]
	v_sub_f32_e32 v35, v29, v35
	v_sub_f32_e32 v54, v30, v54
	v_fma_f32 v39, v39, 2.0, -v47
	v_fma_f32 v46, v46, 2.0, -v43
	v_sub_f32_e32 v37, v33, v37
	v_sub_f32_e32 v56, v55, v56
	v_fma_f32 v41, v41, 2.0, -v49
	v_fma_f32 v48, v48, 2.0, -v32
	;; [unrolled: 4-line block ×4, first 2 shown]
	v_fmamk_f32 v97, v49, 0x3f3504f3, v47
	v_fmamk_f32 v99, v32, 0x3f3504f3, v43
	;; [unrolled: 1-line block ×4, first 2 shown]
	v_fma_f32 v105, v29, 2.0, -v35
	v_fma_f32 v111, v30, 2.0, -v54
	;; [unrolled: 1-line block ×8, first 2 shown]
	v_fmamk_f32 v92, v41, 0xbf3504f3, v39
	v_fmamk_f32 v94, v48, 0xbf3504f3, v46
	v_sub_f32_e32 v56, v35, v56
	v_fmac_f32_e32 v97, 0xbf3504f3, v32
	v_fmac_f32_e32 v99, 0x3f3504f3, v49
	v_fmamk_f32 v49, v42, 0xbf3504f3, v40
	v_fmamk_f32 v116, v52, 0xbf3504f3, v50
	v_sub_f32_e32 v95, v36, v95
	v_add_f32_e32 v115, v54, v37
	v_add_f32_e32 v37, v93, v38
	v_fmac_f32_e32 v101, 0xbf3504f3, v45
	v_fmac_f32_e32 v103, 0x3f3504f3, v53
	v_sub_f32_e32 v45, v105, v29
	v_sub_f32_e32 v53, v111, v30
	v_fmac_f32_e32 v92, 0xbf3504f3, v48
	v_fmac_f32_e32 v94, 0x3f3504f3, v41
	v_fma_f32 v117, v35, 2.0, -v56
	v_fma_f32 v119, v47, 2.0, -v97
	v_sub_f32_e32 v38, v33, v31
	v_sub_f32_e32 v35, v55, v34
	v_fmac_f32_e32 v49, 0xbf3504f3, v52
	v_fmac_f32_e32 v116, 0x3f3504f3, v42
	v_fma_f32 v47, v36, 2.0, -v95
	v_fma_f32 v54, v54, 2.0, -v115
	;; [unrolled: 1-line block ×6, first 2 shown]
	v_fmamk_f32 v29, v95, 0x3f3504f3, v56
	v_fmamk_f32 v30, v37, 0x3f3504f3, v115
	;; [unrolled: 1-line block ×4, first 2 shown]
	v_fma_f32 v52, v105, 2.0, -v45
	v_fma_f32 v93, v111, 2.0, -v53
	;; [unrolled: 1-line block ×8, first 2 shown]
	v_fmamk_f32 v33, v47, 0xbf3504f3, v117
	v_fmamk_f32 v34, v43, 0xbf3504f3, v54
	v_add_f32_e32 v36, v53, v38
	v_fmac_f32_e32 v29, 0xbf3504f3, v37
	v_fmamk_f32 v37, v48, 0xbec3ef15, v119
	v_fmamk_f32 v38, v51, 0xbec3ef15, v121
	v_fmamk_f32 v39, v49, 0x3ec3ef15, v92
	v_fmamk_f32 v40, v116, 0x3ec3ef15, v94
	v_fmac_f32_e32 v30, 0x3f3504f3, v95
	v_fmac_f32_e32 v31, 0xbec3ef15, v103
	v_fmac_f32_e32 v32, 0x3ec3ef15, v101
	v_fmac_f32_e32 v33, 0xbf3504f3, v43
	v_fmamk_f32 v43, v55, 0xbf6c835e, v105
	v_fmamk_f32 v44, v123, 0xbf6c835e, v111
	v_sub_f32_e32 v41, v52, v41
	v_fmac_f32_e32 v34, 0x3f3504f3, v47
	v_fmac_f32_e32 v37, 0xbf6c835e, v51
	;; [unrolled: 1-line block ×3, first 2 shown]
	v_sub_f32_e32 v35, v45, v35
	v_fmac_f32_e32 v39, 0xbf6c835e, v116
	v_fmac_f32_e32 v40, 0x3f6c835e, v49
	v_sub_f32_e32 v42, v93, v42
	v_fma_f32 v47, v56, 2.0, -v29
	v_fma_f32 v48, v115, 2.0, -v30
	;; [unrolled: 1-line block ×4, first 2 shown]
	v_fmac_f32_e32 v43, 0xbec3ef15, v123
	v_fmac_f32_e32 v44, 0x3ec3ef15, v55
	ds_write2_b64 v136, v[29:30], v[31:32] offset0:224 offset1:240
	v_fma_f32 v29, v52, 2.0, -v41
	v_fma_f32 v31, v117, 2.0, -v33
	;; [unrolled: 1-line block ×10, first 2 shown]
	ds_write2_b64 v136, v[47:48], v[49:50] offset0:96 offset1:112
	ds_write2_b64 v136, v[33:34], v[37:38] offset0:160 offset1:176
	v_fma_f32 v33, v105, 2.0, -v43
	v_fma_f32 v34, v111, 2.0, -v44
	ds_write2_b64 v136, v[35:36], v[39:40] offset0:192 offset1:208
	ds_write2_b64 v136, v[31:32], v[51:52] offset0:32 offset1:48
	;; [unrolled: 1-line block ×4, first 2 shown]
	ds_write2_b64 v136, v[29:30], v[33:34] offset1:16
	s_waitcnt lgkmcnt(0)
	s_barrier
	buffer_gl0_inv
	s_clause 0x7
	global_load_dwordx4 v[41:44], v[108:109], off offset:1920
	global_load_dwordx4 v[37:40], v[108:109], off offset:1936
	;; [unrolled: 1-line block ×7, first 2 shown]
	global_load_dwordx2 v[92:93], v[108:109], off offset:2032
	ds_read2st64_b64 v[125:128], v134 offset0:8 offset1:12
	ds_read2st64_b64 v[129:132], v134 offset0:16 offset1:20
	;; [unrolled: 1-line block ×7, first 2 shown]
	ds_read2st64_b64 v[157:160], v134 offset1:4
	s_waitcnt vmcnt(7) lgkmcnt(7)
	v_mul_f32_e32 v94, v126, v44
	v_mul_f32_e32 v95, v125, v44
	s_waitcnt vmcnt(6)
	v_mul_f32_e32 v97, v128, v38
	v_mul_f32_e32 v99, v127, v38
	s_waitcnt lgkmcnt(6)
	v_mul_f32_e32 v101, v130, v40
	v_mul_f32_e32 v103, v129, v40
	s_waitcnt vmcnt(5)
	v_mul_f32_e32 v105, v132, v34
	v_mul_f32_e32 v108, v131, v34
	s_waitcnt lgkmcnt(5)
	;; [unrolled: 6-line block ×3, first 2 shown]
	v_mul_f32_e32 v117, v142, v32
	v_fma_f32 v94, v125, v43, -v94
	v_fmac_f32_e32 v95, v126, v43
	v_fma_f32 v97, v127, v37, -v97
	v_fmac_f32_e32 v99, v128, v37
	v_mul_f32_e32 v119, v141, v32
	s_waitcnt vmcnt(3)
	v_mul_f32_e32 v121, v144, v46
	v_fma_f32 v101, v129, v39, -v101
	v_fmac_f32_e32 v103, v130, v39
	v_fma_f32 v105, v131, v33, -v105
	v_fmac_f32_e32 v108, v132, v33
	v_mul_f32_e32 v123, v143, v46
	s_waitcnt lgkmcnt(3)
	v_mul_f32_e32 v125, v146, v48
	v_mul_f32_e32 v126, v145, v48
	s_waitcnt vmcnt(2)
	v_mul_f32_e32 v127, v148, v50
	v_fma_f32 v109, v137, v35, -v109
	v_fmac_f32_e32 v111, v138, v35
	v_fma_f32 v115, v139, v29, -v115
	v_fmac_f32_e32 v116, v140, v29
	v_mul_f32_e32 v128, v147, v50
	s_waitcnt lgkmcnt(2)
	v_mul_f32_e32 v129, v150, v52
	v_mul_f32_e32 v130, v149, v52
	s_waitcnt vmcnt(1)
	v_mul_f32_e32 v131, v152, v54
	v_fma_f32 v117, v141, v31, -v117
	v_mul_f32_e32 v132, v151, v54
	s_waitcnt lgkmcnt(1)
	v_mul_f32_e32 v133, v154, v56
	v_mul_f32_e32 v137, v153, v56
	s_waitcnt vmcnt(0)
	v_mul_f32_e32 v138, v156, v93
	v_mul_f32_e32 v139, v155, v93
	s_waitcnt lgkmcnt(0)
	v_mul_f32_e32 v140, v160, v42
	v_mul_f32_e32 v141, v159, v42
	v_fmac_f32_e32 v119, v142, v31
	v_fma_f32 v121, v143, v45, -v121
	v_fmac_f32_e32 v123, v144, v45
	v_fma_f32 v125, v145, v47, -v125
	;; [unrolled: 2-line block ×8, first 2 shown]
	v_fmac_f32_e32 v141, v160, v41
	v_sub_f32_e32 v117, v157, v117
	v_sub_f32_e32 v119, v158, v119
	;; [unrolled: 1-line block ×16, first 2 shown]
	v_fma_f32 v142, v157, 2.0, -v117
	v_fma_f32 v143, v158, 2.0, -v119
	;; [unrolled: 1-line block ×16, first 2 shown]
	v_sub_f32_e32 v130, v117, v130
	v_add_f32_e32 v129, v119, v129
	v_sub_f32_e32 v137, v125, v137
	v_add_f32_e32 v133, v126, v133
	;; [unrolled: 2-line block ×4, first 2 shown]
	v_sub_f32_e32 v101, v142, v101
	v_sub_f32_e32 v103, v143, v103
	;; [unrolled: 1-line block ×8, first 2 shown]
	v_fmamk_f32 v145, v137, 0x3f3504f3, v130
	v_fmamk_f32 v146, v133, 0x3f3504f3, v129
	;; [unrolled: 1-line block ×3, first 2 shown]
	v_fma_f32 v117, v117, 2.0, -v130
	v_fma_f32 v119, v119, 2.0, -v129
	;; [unrolled: 1-line block ×8, first 2 shown]
	v_fmamk_f32 v116, v139, 0x3f3504f3, v132
	v_fmac_f32_e32 v145, 0xbf3504f3, v133
	v_fmac_f32_e32 v146, 0x3f3504f3, v137
	;; [unrolled: 1-line block ×3, first 2 shown]
	v_sub_f32_e32 v133, v101, v111
	v_add_f32_e32 v137, v103, v109
	v_add_f32_e32 v139, v144, v108
	v_fma_f32 v142, v142, 2.0, -v101
	v_fma_f32 v143, v143, 2.0, -v103
	;; [unrolled: 1-line block ×8, first 2 shown]
	v_fmamk_f32 v149, v125, 0xbf3504f3, v117
	v_fmamk_f32 v150, v126, 0xbf3504f3, v119
	;; [unrolled: 1-line block ×4, first 2 shown]
	v_fmac_f32_e32 v116, 0xbf3504f3, v138
	v_sub_f32_e32 v138, v105, v115
	v_fmamk_f32 v95, v139, 0x3f3504f3, v137
	v_fmac_f32_e32 v149, 0xbf3504f3, v126
	v_fmac_f32_e32 v150, 0x3f3504f3, v125
	;; [unrolled: 1-line block ×4, first 2 shown]
	v_sub_f32_e32 v148, v142, v148
	v_sub_f32_e32 v97, v140, v97
	;; [unrolled: 1-line block ×4, first 2 shown]
	v_fmamk_f32 v94, v138, 0x3f3504f3, v133
	v_fmamk_f32 v108, v116, 0x3f6c835e, v145
	;; [unrolled: 1-line block ×3, first 2 shown]
	v_fma_f32 v101, v101, 2.0, -v133
	v_fma_f32 v103, v103, 2.0, -v137
	;; [unrolled: 1-line block ×8, first 2 shown]
	v_fmac_f32_e32 v95, 0x3f3504f3, v138
	v_fma_f32 v138, v140, 2.0, -v97
	v_add_f32_e32 v128, v111, v97
	v_sub_f32_e32 v127, v148, v99
	v_fma_f32 v97, v141, 2.0, -v99
	v_fma_f32 v99, v123, 2.0, -v152
	;; [unrolled: 1-line block ×5, first 2 shown]
	v_fmac_f32_e32 v94, 0xbf3504f3, v139
	v_fmac_f32_e32 v108, 0xbec3ef15, v147
	v_fmac_f32_e32 v109, 0x3ec3ef15, v116
	v_fmamk_f32 v115, v105, 0xbf3504f3, v101
	v_fmamk_f32 v116, v144, 0xbf3504f3, v103
	;; [unrolled: 1-line block ×6, first 2 shown]
	v_fma_f32 v123, v142, 2.0, -v148
	v_fma_f32 v141, v143, 2.0, -v111
	v_fmamk_f32 v139, v121, 0xbf6c835e, v117
	v_fmamk_f32 v140, v99, 0xbf6c835e, v119
	v_fma_f32 v131, v133, 2.0, -v94
	v_fma_f32 v132, v137, 2.0, -v95
	ds_write2st64_b64 v134, v[94:95], v[108:109] offset0:56 offset1:60
	v_fma_f32 v94, v145, 2.0, -v108
	v_fma_f32 v95, v146, 2.0, -v109
	v_fmac_f32_e32 v115, 0xbf3504f3, v144
	v_fmac_f32_e32 v116, 0x3f3504f3, v105
	;; [unrolled: 1-line block ×6, first 2 shown]
	v_sub_f32_e32 v137, v123, v138
	v_sub_f32_e32 v138, v141, v97
	v_fmac_f32_e32 v139, 0xbec3ef15, v99
	v_fmac_f32_e32 v140, 0x3ec3ef15, v121
	ds_write2st64_b64 v134, v[131:132], v[94:95] offset0:24 offset1:28
	v_fma_f32 v94, v101, 2.0, -v115
	v_fma_f32 v95, v103, 2.0, -v116
	ds_write2st64_b64 v134, v[115:116], v[125:126] offset0:40 offset1:44
	v_fma_f32 v115, v153, 2.0, -v125
	v_fma_f32 v116, v154, 2.0, -v126
	;; [unrolled: 1-line block ×10, first 2 shown]
	ds_write2st64_b64 v134, v[127:128], v[129:130] offset0:48 offset1:52
	ds_write2st64_b64 v134, v[94:95], v[115:116] offset0:8 offset1:12
	;; [unrolled: 1-line block ×4, first 2 shown]
	ds_write2st64_b64 v134, v[131:132], v[141:142] offset1:4
	s_waitcnt lgkmcnt(0)
	s_barrier
	buffer_gl0_inv
	s_clause 0xf
	global_load_dwordx2 v[94:95], v134, s[6:7]
	global_load_dwordx2 v[96:97], v96, s[6:7]
	;; [unrolled: 1-line block ×16, first 2 shown]
	v_mad_u64_u32 v[126:127], null, s2, v89, 0
	v_mad_u64_u32 v[128:129], null, s0, v0, 0
	ds_read2st64_b64 v[137:140], v134 offset1:4
	ds_read2st64_b64 v[141:144], v134 offset0:8 offset1:12
	ds_read2st64_b64 v[145:148], v134 offset0:16 offset1:20
	;; [unrolled: 1-line block ×3, first 2 shown]
	v_mad_u64_u32 v[130:131], null, s3, v89, v[127:128]
	v_mad_u64_u32 v[131:132], null, s1, v0, v[129:130]
	v_mov_b32_e32 v127, v130
	s_lshl_b64 s[0:1], s[0:1], 11
	v_lshlrev_b64 v[126:127], 3, v[126:127]
	v_mov_b32_e32 v129, v131
	v_lshlrev_b64 v[128:129], 3, v[128:129]
	v_add_co_u32 v0, vcc_lo, s4, v126
	v_add_co_ci_u32_e32 v89, vcc_lo, s5, v127, vcc_lo
	v_add_co_u32 v126, vcc_lo, v0, v128
	v_add_co_ci_u32_e32 v127, vcc_lo, v89, v129, vcc_lo
	v_add_co_u32 v128, vcc_lo, v126, s0
	v_add_co_ci_u32_e32 v129, vcc_lo, s1, v127, vcc_lo
	v_add_co_u32 v130, vcc_lo, v128, s0
	v_add_co_ci_u32_e32 v131, vcc_lo, s1, v129, vcc_lo
	v_add_co_u32 v132, vcc_lo, v130, s0
	v_add_co_ci_u32_e32 v133, vcc_lo, s1, v131, vcc_lo
	s_waitcnt vmcnt(15) lgkmcnt(3)
	v_mul_f32_e32 v0, v138, v95
	v_mul_f32_e32 v154, v137, v95
	s_waitcnt vmcnt(14)
	v_mul_f32_e32 v89, v140, v97
	v_mul_f32_e32 v156, v139, v97
	v_fma_f32 v153, v137, v94, -v0
	v_fmac_f32_e32 v154, v138, v94
	s_waitcnt vmcnt(13) lgkmcnt(2)
	v_mul_f32_e32 v0, v142, v99
	v_fma_f32 v155, v139, v96, -v89
	v_mul_f32_e32 v138, v141, v99
	v_fmac_f32_e32 v156, v140, v96
	s_waitcnt vmcnt(12)
	v_mul_f32_e32 v89, v144, v101
	v_mul_f32_e32 v140, v143, v101
	ds_read2st64_b64 v[94:97], v134 offset0:32 offset1:36
	v_fma_f32 v137, v141, v98, -v0
	v_fmac_f32_e32 v138, v142, v98
	s_waitcnt vmcnt(11) lgkmcnt(2)
	v_mul_f32_e32 v0, v146, v103
	v_fma_f32 v139, v143, v100, -v89
	v_mul_f32_e32 v142, v145, v103
	v_fmac_f32_e32 v140, v144, v100
	s_waitcnt vmcnt(10)
	v_mul_f32_e32 v89, v148, v105
	v_mul_f32_e32 v144, v147, v105
	ds_read2st64_b64 v[98:101], v134 offset0:40 offset1:44
	v_fma_f32 v141, v145, v102, -v0
	v_fmac_f32_e32 v142, v146, v102
	s_waitcnt vmcnt(9) lgkmcnt(2)
	v_mul_f32_e32 v0, v150, v109
	v_fma_f32 v143, v147, v104, -v89
	v_mul_f32_e32 v146, v149, v109
	v_fmac_f32_e32 v144, v148, v104
	ds_read2st64_b64 v[102:105], v134 offset0:48 offset1:52
	s_waitcnt vmcnt(8)
	v_mul_f32_e32 v89, v152, v111
	v_mul_f32_e32 v148, v151, v111
	v_fma_f32 v145, v149, v108, -v0
	v_fmac_f32_e32 v146, v150, v108
	s_waitcnt vmcnt(7) lgkmcnt(2)
	v_mul_f32_e32 v0, v95, v117
	v_fma_f32 v147, v151, v110, -v89
	v_fmac_f32_e32 v148, v152, v110
	ds_read2st64_b64 v[108:111], v134 offset0:56 offset1:60
	v_mul_f32_e32 v150, v94, v117
	s_waitcnt vmcnt(6)
	v_mul_f32_e32 v89, v97, v107
	v_mul_f32_e32 v117, v96, v107
	v_fma_f32 v149, v94, v116, -v0
	s_waitcnt vmcnt(5) lgkmcnt(2)
	v_mul_f32_e32 v0, v99, v113
	v_fmac_f32_e32 v150, v95, v116
	v_fma_f32 v116, v96, v106, -v89
	s_waitcnt vmcnt(4)
	v_mul_f32_e32 v89, v101, v115
	v_mul_f32_e32 v107, v100, v115
	v_fmac_f32_e32 v117, v97, v106
	v_mul_f32_e32 v97, v98, v113
	s_waitcnt vmcnt(3) lgkmcnt(1)
	v_mul_f32_e32 v115, v103, v119
	v_fma_f32 v96, v98, v112, -v0
	v_fma_f32 v106, v100, v114, -v89
	v_fmac_f32_e32 v107, v101, v114
	v_fmac_f32_e32 v97, v99, v112
	v_fma_f32 v98, v102, v118, -v115
	v_mul_f32_e32 v99, v102, v119
	s_waitcnt vmcnt(2)
	v_mul_f32_e32 v0, v105, v121
	s_waitcnt vmcnt(1) lgkmcnt(0)
	v_mul_f32_e32 v89, v109, v123
	v_mul_f32_e32 v113, v108, v123
	s_waitcnt vmcnt(0)
	v_mul_f32_e32 v114, v111, v125
	v_mul_f32_e32 v115, v110, v125
	;; [unrolled: 1-line block ×3, first 2 shown]
	v_fma_f32 v112, v108, v122, -v89
	v_fmac_f32_e32 v113, v109, v122
	v_fma_f32 v114, v110, v124, -v114
	v_fmac_f32_e32 v115, v111, v124
	v_fmac_f32_e32 v99, v103, v118
	v_fma_f32 v100, v104, v120, -v0
	v_fmac_f32_e32 v101, v105, v120
	ds_write2st64_b64 v134, v[153:154], v[155:156] offset1:4
	ds_write2st64_b64 v134, v[137:138], v[139:140] offset0:8 offset1:12
	ds_write2st64_b64 v134, v[141:142], v[143:144] offset0:16 offset1:20
	ds_write2st64_b64 v134, v[145:146], v[147:148] offset0:24 offset1:28
	ds_write2st64_b64 v134, v[149:150], v[116:117] offset0:32 offset1:36
	ds_write2st64_b64 v134, v[96:97], v[106:107] offset0:40 offset1:44
	ds_write2st64_b64 v134, v[98:99], v[100:101] offset0:48 offset1:52
	ds_write2st64_b64 v134, v[112:113], v[114:115] offset0:56 offset1:60
	s_waitcnt lgkmcnt(0)
	s_barrier
	buffer_gl0_inv
	ds_read2st64_b64 v[102:105], v134 offset1:4
	ds_read2st64_b64 v[106:109], v134 offset0:32 offset1:36
	ds_read2st64_b64 v[110:113], v134 offset0:16 offset1:20
	;; [unrolled: 1-line block ×7, first 2 shown]
	s_waitcnt lgkmcnt(0)
	s_barrier
	buffer_gl0_inv
	v_add_co_u32 v94, vcc_lo, v132, s0
	v_add_co_ci_u32_e32 v95, vcc_lo, s1, v133, vcc_lo
	v_add_co_u32 v96, vcc_lo, v94, s0
	v_add_co_ci_u32_e32 v97, vcc_lo, s1, v95, vcc_lo
	v_add_co_u32 v98, vcc_lo, v96, s0
	v_sub_f32_e32 v0, v102, v106
	v_sub_f32_e32 v89, v103, v107
	;; [unrolled: 1-line block ×16, first 2 shown]
	v_fma_f32 v102, v102, 2.0, -v0
	v_fma_f32 v103, v103, 2.0, -v89
	;; [unrolled: 1-line block ×16, first 2 shown]
	v_add_f32_e32 v109, v0, v109
	v_sub_f32_e32 v106, v89, v106
	v_add_f32_e32 v125, v116, v125
	v_sub_f32_e32 v124, v117, v124
	;; [unrolled: 2-line block ×4, first 2 shown]
	v_sub_f32_e32 v110, v102, v110
	v_sub_f32_e32 v111, v103, v111
	v_sub_f32_e32 v137, v118, v137
	v_sub_f32_e32 v138, v119, v138
	v_sub_f32_e32 v112, v104, v112
	v_sub_f32_e32 v113, v105, v113
	v_sub_f32_e32 v139, v120, v139
	v_sub_f32_e32 v140, v121, v140
	v_fmamk_f32 v143, v125, 0x3f3504f3, v109
	v_fmamk_f32 v144, v124, 0x3f3504f3, v106
	;; [unrolled: 1-line block ×4, first 2 shown]
	v_fma_f32 v116, v116, 2.0, -v125
	v_fma_f32 v117, v117, 2.0, -v124
	;; [unrolled: 1-line block ×8, first 2 shown]
	v_fmac_f32_e32 v143, 0x3f3504f3, v124
	v_fmac_f32_e32 v144, 0xbf3504f3, v125
	;; [unrolled: 1-line block ×4, first 2 shown]
	v_add_f32_e32 v124, v110, v138
	v_sub_f32_e32 v125, v111, v137
	v_add_f32_e32 v107, v112, v140
	v_fma_f32 v108, v118, 2.0, -v137
	v_fma_f32 v118, v119, 2.0, -v138
	v_fmamk_f32 v137, v116, 0xbf3504f3, v0
	v_fmamk_f32 v138, v117, 0xbf3504f3, v89
	v_sub_f32_e32 v119, v113, v139
	v_fma_f32 v120, v120, 2.0, -v139
	v_fma_f32 v121, v121, 2.0, -v140
	;; [unrolled: 1-line block ×3, first 2 shown]
	v_fmamk_f32 v140, v122, 0xbf3504f3, v147
	v_fmamk_f32 v150, v123, 0xbf3504f3, v148
	v_fma_f32 v141, v102, 2.0, -v110
	v_fma_f32 v142, v103, 2.0, -v111
	;; [unrolled: 1-line block ×3, first 2 shown]
	v_fmac_f32_e32 v137, 0x3f3504f3, v117
	v_fmac_f32_e32 v138, 0xbf3504f3, v116
	v_fmamk_f32 v102, v107, 0x3f3504f3, v124
	v_fmamk_f32 v103, v119, 0x3f3504f3, v125
	v_fmac_f32_e32 v140, 0x3f3504f3, v123
	v_fmamk_f32 v104, v145, 0x3f6c835e, v143
	v_fmamk_f32 v105, v146, 0x3f6c835e, v144
	v_fma_f32 v123, v110, 2.0, -v124
	v_sub_f32_e32 v110, v139, v121
	v_fmac_f32_e32 v150, 0xbf3504f3, v122
	v_fma_f32 v151, v113, 2.0, -v119
	v_fma_f32 v152, v111, 2.0, -v125
	;; [unrolled: 1-line block ×7, first 2 shown]
	v_sub_f32_e32 v158, v141, v108
	v_sub_f32_e32 v159, v142, v118
	;; [unrolled: 1-line block ×3, first 2 shown]
	v_fmac_f32_e32 v102, 0x3f3504f3, v119
	v_fmac_f32_e32 v103, 0xbf3504f3, v107
	;; [unrolled: 1-line block ×4, first 2 shown]
	v_fma_f32 v119, v139, 2.0, -v110
	v_fma_f32 v122, v148, 2.0, -v150
	;; [unrolled: 1-line block ×5, first 2 shown]
	v_fmamk_f32 v106, v155, 0xbf3504f3, v123
	v_fmamk_f32 v107, v151, 0xbf3504f3, v152
	v_fmamk_f32 v108, v156, 0xbec3ef15, v153
	v_fmamk_f32 v109, v157, 0xbec3ef15, v154
	v_fma_f32 v120, v141, 2.0, -v158
	v_fma_f32 v121, v142, 2.0, -v159
	v_fma_f32 v118, v149, 2.0, -v111
	v_fmamk_f32 v112, v140, 0x3ec3ef15, v137
	v_fmamk_f32 v113, v150, 0x3ec3ef15, v138
	v_fma_f32 v116, v143, 2.0, -v104
	v_fma_f32 v117, v144, 2.0, -v105
	ds_write_b128 v135, v[102:105] offset:112
	v_fmamk_f32 v104, v139, 0xbf6c835e, v0
	v_fmamk_f32 v105, v122, 0xbf6c835e, v89
	v_fma_f32 v114, v124, 2.0, -v102
	v_fma_f32 v115, v125, 2.0, -v103
	v_fmac_f32_e32 v106, 0x3f3504f3, v151
	v_fmac_f32_e32 v107, 0xbf3504f3, v155
	;; [unrolled: 1-line block ×4, first 2 shown]
	v_add_f32_e32 v110, v158, v110
	v_sub_f32_e32 v111, v159, v111
	v_sub_f32_e32 v102, v120, v118
	;; [unrolled: 1-line block ×3, first 2 shown]
	v_fmac_f32_e32 v112, 0x3f6c835e, v150
	v_fmac_f32_e32 v113, 0xbf6c835e, v140
	v_fmac_f32_e32 v104, 0x3ec3ef15, v122
	v_fmac_f32_e32 v105, 0xbec3ef15, v139
	ds_write_b128 v135, v[114:117] offset:48
	v_fma_f32 v114, v123, 2.0, -v106
	v_fma_f32 v115, v152, 2.0, -v107
	;; [unrolled: 1-line block ×6, first 2 shown]
	ds_write_b128 v135, v[106:109] offset:80
	v_fma_f32 v106, v120, 2.0, -v102
	v_fma_f32 v107, v121, 2.0, -v103
	;; [unrolled: 1-line block ×6, first 2 shown]
	ds_write_b128 v135, v[110:113] offset:96
	ds_write_b128 v135, v[114:117] offset:16
	;; [unrolled: 1-line block ×4, first 2 shown]
	ds_write_b128 v135, v[106:109]
	s_waitcnt lgkmcnt(0)
	s_barrier
	buffer_gl0_inv
	ds_read2st64_b64 v[106:109], v134 offset1:4
	ds_read2st64_b64 v[110:113], v134 offset0:8 offset1:12
	ds_read2st64_b64 v[114:117], v134 offset0:16 offset1:20
	;; [unrolled: 1-line block ×7, first 2 shown]
	s_waitcnt lgkmcnt(0)
	s_barrier
	buffer_gl0_inv
	v_add_co_ci_u32_e32 v99, vcc_lo, s1, v97, vcc_lo
	v_add_co_u32 v100, vcc_lo, v98, s0
	v_add_co_ci_u32_e32 v101, vcc_lo, s1, v99, vcc_lo
	v_add_co_u32 v102, vcc_lo, v100, s0
	;; [unrolled: 2-line block ×3, first 2 shown]
	v_mul_f32_e32 v0, v14, v109
	v_mul_f32_e32 v14, v14, v108
	;; [unrolled: 1-line block ×10, first 2 shown]
	v_fmac_f32_e32 v0, v13, v108
	v_fma_f32 v13, v13, v109, -v14
	v_fmac_f32_e32 v89, v15, v110
	v_fma_f32 v14, v15, v111, -v16
	v_mul_f32_e32 v15, v8, v119
	v_mul_f32_e32 v8, v8, v118
	v_mul_f32_e32 v16, v2, v121
	v_mul_f32_e32 v2, v2, v120
	v_fmac_f32_e32 v135, v9, v112
	v_fma_f32 v9, v9, v113, -v10
	v_mul_f32_e32 v10, v4, v123
	v_mul_f32_e32 v4, v4, v122
	v_mul_f32_e32 v108, v26, v125
	v_mul_f32_e32 v26, v26, v124
	;; [unrolled: 6-line block ×5, first 2 shown]
	v_fmac_f32_e32 v16, v1, v120
	v_fma_f32 v1, v1, v121, -v2
	v_fmac_f32_e32 v10, v3, v122
	v_fma_f32 v2, v3, v123, -v4
	;; [unrolled: 2-line block ×9, first 2 shown]
	v_sub_f32_e32 v10, v106, v10
	v_sub_f32_e32 v2, v107, v2
	;; [unrolled: 1-line block ×16, first 2 shown]
	v_fma_f32 v26, v106, 2.0, -v10
	v_fma_f32 v27, v107, 2.0, -v2
	v_fma_f32 v28, v149, 2.0, -v6
	v_fma_f32 v11, v11, 2.0, -v20
	v_fma_f32 v89, v89, 2.0, -v12
	v_fma_f32 v14, v14, 2.0, -v4
	v_fma_f32 v15, v15, 2.0, -v8
	v_fma_f32 v7, v7, 2.0, -v18
	v_fma_f32 v0, v0, 2.0, -v22
	v_fma_f32 v90, v150, 2.0, -v23
	v_fma_f32 v5, v5, 2.0, -v17
	v_fma_f32 v91, v135, 2.0, -v24
	v_fma_f32 v16, v16, 2.0, -v25
	v_fma_f32 v1, v1, 2.0, -v19
	v_add_f32_e32 v20, v10, v20
	v_sub_f32_e32 v6, v2, v6
	v_add_f32_e32 v18, v12, v18
	v_sub_f32_e32 v8, v4, v8
	;; [unrolled: 2-line block ×4, first 2 shown]
	v_fma_f32 v13, v13, 2.0, -v3
	v_fma_f32 v9, v9, 2.0, -v21
	v_sub_f32_e32 v28, v26, v28
	v_sub_f32_e32 v11, v27, v11
	v_fma_f32 v10, v10, 2.0, -v20
	v_fma_f32 v106, v2, 2.0, -v6
	v_sub_f32_e32 v2, v89, v15
	v_sub_f32_e32 v7, v14, v7
	v_fma_f32 v12, v12, 2.0, -v18
	v_fma_f32 v4, v4, 2.0, -v8
	v_sub_f32_e32 v15, v0, v90
	v_fma_f32 v22, v22, 2.0, -v17
	v_fma_f32 v90, v3, 2.0, -v23
	;; [unrolled: 3-line block ×3, first 2 shown]
	v_fmamk_f32 v107, v8, 0x3f3504f3, v6
	v_sub_f32_e32 v5, v13, v5
	v_sub_f32_e32 v1, v9, v1
	v_fmamk_f32 v24, v18, 0x3f3504f3, v20
	v_fmamk_f32 v108, v19, 0x3f3504f3, v17
	v_fmamk_f32 v109, v25, 0x3f3504f3, v23
	v_fma_f32 v26, v26, 2.0, -v28
	v_fma_f32 v27, v27, 2.0, -v11
	;; [unrolled: 1-line block ×6, first 2 shown]
	v_fmamk_f32 v91, v12, 0xbf3504f3, v10
	v_fmamk_f32 v111, v4, 0xbf3504f3, v106
	v_fmac_f32_e32 v107, 0xbf3504f3, v18
	v_fmamk_f32 v18, v16, 0xbf3504f3, v22
	v_fmamk_f32 v114, v21, 0xbf3504f3, v90
	v_add_f32_e32 v112, v28, v7
	v_sub_f32_e32 v113, v11, v2
	v_fmac_f32_e32 v24, 0x3f3504f3, v8
	v_add_f32_e32 v115, v15, v1
	v_sub_f32_e32 v116, v5, v3
	v_fmac_f32_e32 v108, 0x3f3504f3, v25
	v_fmac_f32_e32 v109, 0xbf3504f3, v19
	v_fma_f32 v13, v13, 2.0, -v5
	v_fma_f32 v9, v9, 2.0, -v1
	v_sub_f32_e32 v19, v26, v89
	v_sub_f32_e32 v25, v27, v14
	v_fmac_f32_e32 v91, 0x3f3504f3, v4
	v_fmac_f32_e32 v111, 0xbf3504f3, v12
	;; [unrolled: 1-line block ×4, first 2 shown]
	v_fma_f32 v28, v28, 2.0, -v112
	v_fma_f32 v89, v11, 2.0, -v113
	;; [unrolled: 1-line block ×4, first 2 shown]
	v_sub_f32_e32 v7, v110, v0
	v_fma_f32 v16, v15, 2.0, -v115
	v_fma_f32 v20, v5, 2.0, -v116
	;; [unrolled: 1-line block ×4, first 2 shown]
	v_sub_f32_e32 v6, v13, v9
	v_fmamk_f32 v0, v115, 0x3f3504f3, v112
	v_fmamk_f32 v1, v116, 0x3f3504f3, v113
	;; [unrolled: 1-line block ×4, first 2 shown]
	v_fma_f32 v23, v26, 2.0, -v19
	v_fma_f32 v26, v27, 2.0, -v25
	;; [unrolled: 1-line block ×7, first 2 shown]
	v_fmamk_f32 v4, v16, 0xbf3504f3, v28
	v_fmamk_f32 v5, v20, 0xbf3504f3, v89
	;; [unrolled: 1-line block ×6, first 2 shown]
	v_fma_f32 v13, v13, 2.0, -v6
	v_add_f32_e32 v6, v19, v6
	v_fmac_f32_e32 v0, 0x3f3504f3, v116
	v_fmac_f32_e32 v1, 0xbf3504f3, v115
	;; [unrolled: 1-line block ×4, first 2 shown]
	v_fmamk_f32 v14, v22, 0xbf6c835e, v27
	v_fmamk_f32 v15, v90, 0xbf6c835e, v106
	v_sub_f32_e32 v12, v23, v12
	v_fmac_f32_e32 v4, 0x3f3504f3, v20
	v_fmac_f32_e32 v5, 0xbf3504f3, v16
	;; [unrolled: 1-line block ×4, first 2 shown]
	v_sub_f32_e32 v7, v25, v7
	v_fmac_f32_e32 v10, 0x3f6c835e, v114
	v_fmac_f32_e32 v11, 0xbf6c835e, v18
	v_sub_f32_e32 v13, v26, v13
	v_fma_f32 v16, v19, 2.0, -v6
	v_fma_f32 v18, v112, 2.0, -v0
	;; [unrolled: 1-line block ×5, first 2 shown]
	v_fmac_f32_e32 v14, 0x3ec3ef15, v90
	v_fmac_f32_e32 v15, 0xbec3ef15, v22
	ds_write2_b64 v136, v[0:1], v[2:3] offset0:224 offset1:240
	v_fma_f32 v0, v23, 2.0, -v12
	v_fma_f32 v2, v28, 2.0, -v4
	;; [unrolled: 1-line block ×9, first 2 shown]
	ds_write2_b64 v136, v[18:19], v[20:21] offset0:96 offset1:112
	ds_write2_b64 v136, v[4:5], v[8:9] offset0:160 offset1:176
	v_fma_f32 v4, v27, 2.0, -v14
	v_fma_f32 v5, v106, 2.0, -v15
	ds_write2_b64 v136, v[6:7], v[10:11] offset0:192 offset1:208
	ds_write2_b64 v136, v[2:3], v[22:23] offset0:32 offset1:48
	;; [unrolled: 1-line block ×4, first 2 shown]
	ds_write2_b64 v136, v[0:1], v[4:5] offset1:16
	s_waitcnt lgkmcnt(0)
	s_barrier
	buffer_gl0_inv
	ds_read2st64_b64 v[0:3], v134 offset1:4
	ds_read2st64_b64 v[4:7], v134 offset0:8 offset1:12
	ds_read2st64_b64 v[8:11], v134 offset0:16 offset1:20
	ds_read2st64_b64 v[12:15], v134 offset0:24 offset1:28
	ds_read2st64_b64 v[16:19], v134 offset0:32 offset1:36
	ds_read2st64_b64 v[20:23], v134 offset0:40 offset1:44
	ds_read2st64_b64 v[24:27], v134 offset0:48 offset1:52
	ds_read2st64_b64 v[106:109], v134 offset0:56 offset1:60
	v_add_co_ci_u32_e32 v105, vcc_lo, s1, v103, vcc_lo
	v_add_co_u32 v89, vcc_lo, v104, s0
	v_add_co_ci_u32_e32 v90, vcc_lo, s1, v105, vcc_lo
	v_add_co_u32 v110, vcc_lo, v89, s0
	;; [unrolled: 2-line block ×3, first 2 shown]
	s_waitcnt lgkmcnt(7)
	v_mul_f32_e32 v28, v42, v3
	v_mul_f32_e32 v42, v42, v2
	s_waitcnt lgkmcnt(6)
	v_mul_f32_e32 v91, v44, v5
	v_mul_f32_e32 v44, v44, v4
	v_mul_f32_e32 v114, v38, v7
	v_mul_f32_e32 v38, v38, v6
	s_waitcnt lgkmcnt(5)
	v_mul_f32_e32 v115, v40, v9
	v_mul_f32_e32 v40, v40, v8
	;; [unrolled: 5-line block ×7, first 2 shown]
	v_mul_f32_e32 v135, v93, v109
	v_mul_f32_e32 v93, v93, v108
	v_fmac_f32_e32 v28, v41, v2
	v_fma_f32 v2, v41, v3, -v42
	v_fmac_f32_e32 v91, v43, v4
	v_fma_f32 v3, v43, v5, -v44
	;; [unrolled: 2-line block ×15, first 2 shown]
	v_sub_f32_e32 v17, v0, v119
	v_sub_f32_e32 v9, v1, v9
	;; [unrolled: 1-line block ×16, first 2 shown]
	v_fma_f32 v0, v0, 2.0, -v17
	v_fma_f32 v1, v1, 2.0, -v9
	;; [unrolled: 1-line block ×16, first 2 shown]
	v_add_f32_e32 v13, v17, v13
	v_sub_f32_e32 v18, v9, v18
	v_add_f32_e32 v15, v19, v15
	v_sub_f32_e32 v20, v11, v20
	;; [unrolled: 2-line block ×4, first 2 shown]
	v_sub_f32_e32 v25, v0, v25
	v_sub_f32_e32 v5, v1, v5
	v_fma_f32 v17, v17, 2.0, -v13
	v_fma_f32 v9, v9, 2.0, -v18
	v_sub_f32_e32 v27, v26, v27
	v_sub_f32_e32 v7, v3, v7
	v_fma_f32 v19, v19, 2.0, -v15
	v_fma_f32 v11, v11, 2.0, -v20
	;; [unrolled: 4-line block ×4, first 2 shown]
	v_fmamk_f32 v32, v15, 0x3f3504f3, v13
	v_fmamk_f32 v33, v20, 0x3f3504f3, v18
	;; [unrolled: 1-line block ×4, first 2 shown]
	v_fma_f32 v36, v0, 2.0, -v25
	v_fma_f32 v37, v1, 2.0, -v5
	;; [unrolled: 1-line block ×8, first 2 shown]
	v_fmamk_f32 v30, v19, 0xbf3504f3, v17
	v_fmamk_f32 v38, v11, 0xbf3504f3, v9
	v_fmac_f32_e32 v32, 0x3f3504f3, v20
	v_fmamk_f32 v20, v23, 0xbf3504f3, v21
	v_fmamk_f32 v40, v12, 0xbf3504f3, v10
	v_add_f32_e32 v39, v25, v7
	v_sub_f32_e32 v27, v5, v27
	v_fmac_f32_e32 v33, 0xbf3504f3, v15
	v_add_f32_e32 v15, v29, v8
	v_sub_f32_e32 v31, v6, v31
	v_fmac_f32_e32 v34, 0x3f3504f3, v24
	v_fmac_f32_e32 v35, 0xbf3504f3, v16
	v_sub_f32_e32 v16, v36, v0
	v_sub_f32_e32 v24, v37, v1
	v_fmac_f32_e32 v30, 0x3f3504f3, v11
	v_fmac_f32_e32 v38, 0xbf3504f3, v19
	v_sub_f32_e32 v11, v26, v2
	v_sub_f32_e32 v8, v28, v3
	v_fmac_f32_e32 v20, 0x3f3504f3, v12
	v_fmac_f32_e32 v40, 0xbf3504f3, v23
	v_fma_f32 v25, v25, 2.0, -v39
	v_fma_f32 v41, v5, 2.0, -v27
	;; [unrolled: 1-line block ×8, first 2 shown]
	v_fmamk_f32 v0, v15, 0x3f3504f3, v39
	v_fmamk_f32 v1, v31, 0x3f3504f3, v27
	;; [unrolled: 1-line block ×4, first 2 shown]
	v_fma_f32 v29, v36, 2.0, -v16
	v_fma_f32 v36, v37, 2.0, -v24
	;; [unrolled: 1-line block ×8, first 2 shown]
	v_fmamk_f32 v4, v18, 0xbf3504f3, v25
	v_fmamk_f32 v5, v19, 0xbf3504f3, v41
	;; [unrolled: 1-line block ×4, first 2 shown]
	v_sub_f32_e32 v9, v24, v11
	v_fmamk_f32 v10, v20, 0x3ec3ef15, v30
	v_fmamk_f32 v11, v40, 0x3ec3ef15, v38
	v_fmac_f32_e32 v0, 0x3f3504f3, v31
	v_fmac_f32_e32 v1, 0xbf3504f3, v15
	;; [unrolled: 1-line block ×4, first 2 shown]
	v_fmamk_f32 v14, v26, 0xbf6c835e, v37
	v_fmamk_f32 v15, v28, 0xbf6c835e, v44
	v_fmac_f32_e32 v4, 0x3f3504f3, v19
	v_fmac_f32_e32 v5, 0xbf3504f3, v18
	;; [unrolled: 1-line block ×4, first 2 shown]
	v_add_f32_e32 v8, v16, v8
	v_fmac_f32_e32 v10, 0x3f6c835e, v40
	v_fmac_f32_e32 v11, 0xbf6c835e, v20
	v_sub_f32_e32 v12, v29, v12
	v_sub_f32_e32 v13, v36, v13
	v_fma_f32 v18, v39, 2.0, -v0
	v_fma_f32 v19, v27, 2.0, -v1
	;; [unrolled: 1-line block ×4, first 2 shown]
	v_fmac_f32_e32 v14, 0x3ec3ef15, v28
	v_fmac_f32_e32 v15, 0xbec3ef15, v26
	ds_write2st64_b64 v134, v[0:1], v[2:3] offset0:56 offset1:60
	v_fma_f32 v2, v25, 2.0, -v4
	v_fma_f32 v3, v41, 2.0, -v5
	;; [unrolled: 1-line block ×10, first 2 shown]
	ds_write2st64_b64 v134, v[18:19], v[20:21] offset0:24 offset1:28
	ds_write2st64_b64 v134, v[4:5], v[6:7] offset0:40 offset1:44
	v_fma_f32 v4, v37, 2.0, -v14
	v_fma_f32 v5, v44, 2.0, -v15
	ds_write2st64_b64 v134, v[8:9], v[10:11] offset0:48 offset1:52
	ds_write2st64_b64 v134, v[2:3], v[22:23] offset0:8 offset1:12
	;; [unrolled: 1-line block ×4, first 2 shown]
	ds_write2st64_b64 v134, v[0:1], v[4:5] offset1:4
	s_waitcnt lgkmcnt(0)
	s_barrier
	buffer_gl0_inv
	ds_read2st64_b64 v[0:3], v134 offset1:4
	ds_read2st64_b64 v[4:7], v134 offset0:8 offset1:12
	ds_read2st64_b64 v[8:11], v134 offset0:16 offset1:20
	;; [unrolled: 1-line block ×7, first 2 shown]
	v_add_co_ci_u32_e32 v113, vcc_lo, s1, v111, vcc_lo
	v_add_co_u32 v32, vcc_lo, v112, s0
	v_add_co_ci_u32_e32 v33, vcc_lo, s1, v113, vcc_lo
	v_add_co_u32 v34, vcc_lo, v32, s0
	;; [unrolled: 2-line block ×3, first 2 shown]
	s_waitcnt lgkmcnt(7)
	v_mul_f32_e32 v38, v80, v1
	v_mul_f32_e32 v39, v80, v0
	v_mul_f32_e32 v40, v82, v3
	v_mul_f32_e32 v41, v82, v2
	s_waitcnt lgkmcnt(6)
	v_mul_f32_e32 v42, v74, v5
	v_mul_f32_e32 v43, v74, v4
	v_mul_f32_e32 v44, v84, v7
	v_mul_f32_e32 v45, v84, v6
	;; [unrolled: 5-line block ×8, first 2 shown]
	v_fmac_f32_e32 v38, v79, v0
	v_fma_f32 v1, v79, v1, -v39
	v_fmac_f32_e32 v40, v81, v2
	v_fma_f32 v3, v81, v3, -v41
	;; [unrolled: 2-line block ×16, first 2 shown]
	v_mul_f32_e32 v0, 0x39800000, v38
	v_mul_f32_e32 v1, 0x39800000, v1
	;; [unrolled: 1-line block ×10, first 2 shown]
	v_add_co_ci_u32_e32 v37, vcc_lo, s1, v35, vcc_lo
	v_mul_f32_e32 v10, 0x39800000, v48
	v_mul_f32_e32 v11, 0x39800000, v11
	;; [unrolled: 1-line block ×22, first 2 shown]
	global_store_dwordx2 v[126:127], v[0:1], off
	global_store_dwordx2 v[128:129], v[2:3], off
	;; [unrolled: 1-line block ×16, first 2 shown]
.LBB0_2:
	s_endpgm
	.section	.rodata,"a",@progbits
	.p2align	6, 0x0
	.amdhsa_kernel bluestein_single_back_len4096_dim1_sp_op_CI_CI
		.amdhsa_group_segment_fixed_size 32768
		.amdhsa_private_segment_fixed_size 0
		.amdhsa_kernarg_size 104
		.amdhsa_user_sgpr_count 6
		.amdhsa_user_sgpr_private_segment_buffer 1
		.amdhsa_user_sgpr_dispatch_ptr 0
		.amdhsa_user_sgpr_queue_ptr 0
		.amdhsa_user_sgpr_kernarg_segment_ptr 1
		.amdhsa_user_sgpr_dispatch_id 0
		.amdhsa_user_sgpr_flat_scratch_init 0
		.amdhsa_user_sgpr_private_segment_size 0
		.amdhsa_wavefront_size32 1
		.amdhsa_uses_dynamic_stack 0
		.amdhsa_system_sgpr_private_segment_wavefront_offset 0
		.amdhsa_system_sgpr_workgroup_id_x 1
		.amdhsa_system_sgpr_workgroup_id_y 0
		.amdhsa_system_sgpr_workgroup_id_z 0
		.amdhsa_system_sgpr_workgroup_info 0
		.amdhsa_system_vgpr_workitem_id 0
		.amdhsa_next_free_vgpr 161
		.amdhsa_next_free_sgpr 20
		.amdhsa_reserve_vcc 1
		.amdhsa_reserve_flat_scratch 0
		.amdhsa_float_round_mode_32 0
		.amdhsa_float_round_mode_16_64 0
		.amdhsa_float_denorm_mode_32 3
		.amdhsa_float_denorm_mode_16_64 3
		.amdhsa_dx10_clamp 1
		.amdhsa_ieee_mode 1
		.amdhsa_fp16_overflow 0
		.amdhsa_workgroup_processor_mode 1
		.amdhsa_memory_ordered 1
		.amdhsa_forward_progress 0
		.amdhsa_shared_vgpr_count 0
		.amdhsa_exception_fp_ieee_invalid_op 0
		.amdhsa_exception_fp_denorm_src 0
		.amdhsa_exception_fp_ieee_div_zero 0
		.amdhsa_exception_fp_ieee_overflow 0
		.amdhsa_exception_fp_ieee_underflow 0
		.amdhsa_exception_fp_ieee_inexact 0
		.amdhsa_exception_int_div_zero 0
	.end_amdhsa_kernel
	.text
.Lfunc_end0:
	.size	bluestein_single_back_len4096_dim1_sp_op_CI_CI, .Lfunc_end0-bluestein_single_back_len4096_dim1_sp_op_CI_CI
                                        ; -- End function
	.section	.AMDGPU.csdata,"",@progbits
; Kernel info:
; codeLenInByte = 11400
; NumSgprs: 22
; NumVgprs: 161
; ScratchSize: 0
; MemoryBound: 0
; FloatMode: 240
; IeeeMode: 1
; LDSByteSize: 32768 bytes/workgroup (compile time only)
; SGPRBlocks: 2
; VGPRBlocks: 20
; NumSGPRsForWavesPerEU: 22
; NumVGPRsForWavesPerEU: 161
; Occupancy: 5
; WaveLimiterHint : 1
; COMPUTE_PGM_RSRC2:SCRATCH_EN: 0
; COMPUTE_PGM_RSRC2:USER_SGPR: 6
; COMPUTE_PGM_RSRC2:TRAP_HANDLER: 0
; COMPUTE_PGM_RSRC2:TGID_X_EN: 1
; COMPUTE_PGM_RSRC2:TGID_Y_EN: 0
; COMPUTE_PGM_RSRC2:TGID_Z_EN: 0
; COMPUTE_PGM_RSRC2:TIDIG_COMP_CNT: 0
	.text
	.p2alignl 6, 3214868480
	.fill 48, 4, 3214868480
	.type	__hip_cuid_f05c026c5c7c7d71,@object ; @__hip_cuid_f05c026c5c7c7d71
	.section	.bss,"aw",@nobits
	.globl	__hip_cuid_f05c026c5c7c7d71
__hip_cuid_f05c026c5c7c7d71:
	.byte	0                               ; 0x0
	.size	__hip_cuid_f05c026c5c7c7d71, 1

	.ident	"AMD clang version 19.0.0git (https://github.com/RadeonOpenCompute/llvm-project roc-6.4.0 25133 c7fe45cf4b819c5991fe208aaa96edf142730f1d)"
	.section	".note.GNU-stack","",@progbits
	.addrsig
	.addrsig_sym __hip_cuid_f05c026c5c7c7d71
	.amdgpu_metadata
---
amdhsa.kernels:
  - .args:
      - .actual_access:  read_only
        .address_space:  global
        .offset:         0
        .size:           8
        .value_kind:     global_buffer
      - .actual_access:  read_only
        .address_space:  global
        .offset:         8
        .size:           8
        .value_kind:     global_buffer
      - .actual_access:  read_only
        .address_space:  global
        .offset:         16
        .size:           8
        .value_kind:     global_buffer
      - .actual_access:  read_only
        .address_space:  global
        .offset:         24
        .size:           8
        .value_kind:     global_buffer
      - .actual_access:  read_only
        .address_space:  global
        .offset:         32
        .size:           8
        .value_kind:     global_buffer
      - .offset:         40
        .size:           8
        .value_kind:     by_value
      - .address_space:  global
        .offset:         48
        .size:           8
        .value_kind:     global_buffer
      - .address_space:  global
        .offset:         56
        .size:           8
        .value_kind:     global_buffer
      - .address_space:  global
        .offset:         64
        .size:           8
        .value_kind:     global_buffer
      - .address_space:  global
        .offset:         72
        .size:           8
        .value_kind:     global_buffer
      - .offset:         80
        .size:           4
        .value_kind:     by_value
      - .address_space:  global
        .offset:         88
        .size:           8
        .value_kind:     global_buffer
      - .address_space:  global
        .offset:         96
        .size:           8
        .value_kind:     global_buffer
    .group_segment_fixed_size: 32768
    .kernarg_segment_align: 8
    .kernarg_segment_size: 104
    .language:       OpenCL C
    .language_version:
      - 2
      - 0
    .max_flat_workgroup_size: 256
    .name:           bluestein_single_back_len4096_dim1_sp_op_CI_CI
    .private_segment_fixed_size: 0
    .sgpr_count:     22
    .sgpr_spill_count: 0
    .symbol:         bluestein_single_back_len4096_dim1_sp_op_CI_CI.kd
    .uniform_work_group_size: 1
    .uses_dynamic_stack: false
    .vgpr_count:     161
    .vgpr_spill_count: 0
    .wavefront_size: 32
    .workgroup_processor_mode: 1
amdhsa.target:   amdgcn-amd-amdhsa--gfx1030
amdhsa.version:
  - 1
  - 2
...

	.end_amdgpu_metadata
